;; amdgpu-corpus repo=ROCm/rocFFT kind=compiled arch=gfx906 opt=O3
	.text
	.amdgcn_target "amdgcn-amd-amdhsa--gfx906"
	.amdhsa_code_object_version 6
	.protected	fft_rtc_fwd_len224_factors_2_4_4_7_wgs_252_tpt_14_dim3_sp_ip_CI_sbcc_twdbase8_3step_dirReg_intrinsicReadWrite ; -- Begin function fft_rtc_fwd_len224_factors_2_4_4_7_wgs_252_tpt_14_dim3_sp_ip_CI_sbcc_twdbase8_3step_dirReg_intrinsicReadWrite
	.globl	fft_rtc_fwd_len224_factors_2_4_4_7_wgs_252_tpt_14_dim3_sp_ip_CI_sbcc_twdbase8_3step_dirReg_intrinsicReadWrite
	.p2align	8
	.type	fft_rtc_fwd_len224_factors_2_4_4_7_wgs_252_tpt_14_dim3_sp_ip_CI_sbcc_twdbase8_3step_dirReg_intrinsicReadWrite,@function
fft_rtc_fwd_len224_factors_2_4_4_7_wgs_252_tpt_14_dim3_sp_ip_CI_sbcc_twdbase8_3step_dirReg_intrinsicReadWrite: ; @fft_rtc_fwd_len224_factors_2_4_4_7_wgs_252_tpt_14_dim3_sp_ip_CI_sbcc_twdbase8_3step_dirReg_intrinsicReadWrite
; %bb.0:
	s_load_dwordx4 s[0:3], s[4:5], 0x10
	s_mov_b32 s7, 0
	s_mov_b64 s[20:21], 0
	s_waitcnt lgkmcnt(0)
	s_load_dwordx2 s[10:11], s[0:1], 0x8
	s_waitcnt lgkmcnt(0)
	s_add_u32 s8, s10, -1
	s_addc_u32 s9, s11, -1
	s_add_u32 s12, 0, 0x38e27e00
	s_addc_u32 s13, 0, 62
	s_mul_hi_u32 s15, s12, 0xffffffee
	s_add_i32 s13, s13, 0xe38e350
	s_sub_i32 s15, s15, s12
	s_mul_i32 s18, s13, 0xffffffee
	s_mul_i32 s14, s12, 0xffffffee
	s_add_i32 s15, s15, s18
	s_mul_hi_u32 s16, s13, s14
	s_mul_i32 s17, s13, s14
	s_mul_i32 s19, s12, s15
	s_mul_hi_u32 s14, s12, s14
	s_mul_hi_u32 s18, s12, s15
	s_add_u32 s14, s14, s19
	s_addc_u32 s18, 0, s18
	s_add_u32 s14, s14, s17
	s_mul_hi_u32 s19, s13, s15
	s_addc_u32 s14, s18, s16
	s_addc_u32 s16, s19, 0
	s_mul_i32 s15, s13, s15
	s_add_u32 s14, s14, s15
	v_mov_b32_e32 v1, s14
	s_addc_u32 s15, 0, s16
	v_add_co_u32_e32 v1, vcc, s12, v1
	s_cmp_lg_u64 vcc, 0
	s_addc_u32 s12, s13, s15
	v_readfirstlane_b32 s15, v1
	s_mul_i32 s14, s8, s12
	s_mul_hi_u32 s16, s8, s15
	s_mul_hi_u32 s13, s8, s12
	s_add_u32 s14, s16, s14
	s_addc_u32 s13, 0, s13
	s_mul_hi_u32 s17, s9, s15
	s_mul_i32 s15, s9, s15
	s_add_u32 s14, s14, s15
	s_mul_hi_u32 s16, s9, s12
	s_addc_u32 s13, s13, s17
	s_addc_u32 s14, s16, 0
	s_mul_i32 s12, s9, s12
	s_add_u32 s12, s13, s12
	s_addc_u32 s13, 0, s14
	s_add_u32 s14, s12, 1
	s_addc_u32 s15, s13, 0
	s_add_u32 s16, s12, 2
	s_mul_i32 s18, s13, 18
	s_mul_hi_u32 s19, s12, 18
	s_addc_u32 s17, s13, 0
	s_add_i32 s19, s19, s18
	s_mul_i32 s18, s12, 18
	v_mov_b32_e32 v1, s18
	v_sub_co_u32_e32 v1, vcc, s8, v1
	s_cmp_lg_u64 vcc, 0
	s_subb_u32 s8, s9, s19
	v_subrev_co_u32_e32 v2, vcc, 18, v1
	s_cmp_lg_u64 vcc, 0
	s_subb_u32 s9, s8, 0
	v_readfirstlane_b32 s18, v2
	s_cmp_gt_u32 s18, 17
	s_cselect_b32 s18, -1, 0
	s_cmp_eq_u32 s9, 0
	s_cselect_b32 s9, s18, -1
	s_cmp_lg_u32 s9, 0
	s_cselect_b32 s9, s16, s14
	s_cselect_b32 s14, s17, s15
	v_readfirstlane_b32 s15, v1
	s_cmp_gt_u32 s15, 17
	s_cselect_b32 s15, -1, 0
	s_cmp_eq_u32 s8, 0
	s_cselect_b32 s8, s15, -1
	s_cmp_lg_u32 s8, 0
	s_cselect_b32 s9, s9, s12
	s_cselect_b32 s8, s14, s13
	s_add_u32 s18, s9, 1
	s_addc_u32 s19, s8, 0
	v_mov_b32_e32 v1, s18
	v_mov_b32_e32 v2, s19
	v_cmp_lt_u64_e32 vcc, s[6:7], v[1:2]
	s_cbranch_vccnz .LBB0_2
; %bb.1:
	v_cvt_f32_u32_e32 v1, s18
	s_sub_i32 s8, 0, s18
	s_mov_b32 s21, s7
	v_rcp_iflag_f32_e32 v1, v1
	v_mul_f32_e32 v1, 0x4f7ffffe, v1
	v_cvt_u32_f32_e32 v1, v1
	v_readfirstlane_b32 s9, v1
	s_mul_i32 s8, s8, s9
	s_mul_hi_u32 s8, s9, s8
	s_add_i32 s9, s9, s8
	s_mul_hi_u32 s8, s6, s9
	s_mul_i32 s12, s8, s18
	s_sub_i32 s12, s6, s12
	s_add_i32 s9, s8, 1
	s_sub_i32 s13, s12, s18
	s_cmp_ge_u32 s12, s18
	s_cselect_b32 s8, s9, s8
	s_cselect_b32 s12, s13, s12
	s_add_i32 s9, s8, 1
	s_cmp_ge_u32 s12, s18
	s_cselect_b32 s20, s9, s8
.LBB0_2:
	s_load_dwordx2 s[22:23], s[0:1], 0x10
	s_load_dwordx2 s[8:9], s[4:5], 0x50
	;; [unrolled: 1-line block ×3, first 2 shown]
	s_load_dwordx4 s[12:15], s[2:3], 0x0
	s_mov_b64 s[0:1], s[20:21]
	s_waitcnt lgkmcnt(0)
	v_mov_b32_e32 v1, s22
	v_mov_b32_e32 v2, s23
	v_cmp_lt_u64_e32 vcc, s[20:21], v[1:2]
	s_cbranch_vccnz .LBB0_4
; %bb.3:
	v_cvt_f32_u32_e32 v1, s22
	s_sub_i32 s0, 0, s22
	v_rcp_iflag_f32_e32 v1, v1
	v_mul_f32_e32 v1, 0x4f7ffffe, v1
	v_cvt_u32_f32_e32 v1, v1
	v_readfirstlane_b32 s1, v1
	s_mul_i32 s0, s0, s1
	s_mul_hi_u32 s0, s1, s0
	s_add_i32 s1, s1, s0
	s_mul_hi_u32 s0, s20, s1
	s_mul_i32 s0, s0, s22
	s_sub_i32 s0, s20, s0
	s_sub_i32 s1, s0, s22
	s_cmp_ge_u32 s0, s22
	s_cselect_b32 s0, s1, s0
	s_sub_i32 s1, s0, s22
	s_cmp_ge_u32 s0, s22
	s_cselect_b32 s0, s1, s0
.LBB0_4:
	s_mul_i32 s1, s22, s19
	s_mul_hi_u32 s13, s22, s18
	s_add_i32 s1, s13, s1
	s_mul_i32 s13, s23, s18
	s_mul_i32 s24, s22, s18
	s_add_i32 s25, s1, s13
	s_load_dwordx2 s[22:23], s[2:3], 0x10
	v_mov_b32_e32 v1, s24
	v_mov_b32_e32 v2, s25
	v_cmp_lt_u64_e32 vcc, s[6:7], v[1:2]
	s_mov_b64 s[26:27], 0
	s_cbranch_vccnz .LBB0_6
; %bb.5:
	v_cvt_f32_u32_e32 v1, s24
	s_sub_i32 s1, 0, s24
	v_rcp_iflag_f32_e32 v1, v1
	v_mul_f32_e32 v1, 0x4f7ffffe, v1
	v_cvt_u32_f32_e32 v1, v1
	v_readfirstlane_b32 s7, v1
	s_mul_i32 s1, s1, s7
	s_mul_hi_u32 s1, s7, s1
	s_add_i32 s7, s7, s1
	s_mul_hi_u32 s1, s6, s7
	s_mul_i32 s13, s1, s24
	s_sub_i32 s13, s6, s13
	s_add_i32 s7, s1, 1
	s_sub_i32 s15, s13, s24
	s_cmp_ge_u32 s13, s24
	s_cselect_b32 s1, s7, s1
	s_cselect_b32 s13, s15, s13
	s_add_i32 s7, s1, 1
	s_cmp_ge_u32 s13, s24
	s_cselect_b32 s26, s7, s1
.LBB0_6:
	s_mul_i32 s1, s20, s19
	s_mul_hi_u32 s7, s20, s18
	s_load_dword s2, s[2:3], 0x18
	s_add_i32 s7, s7, s1
	s_mul_i32 s1, s20, s18
	s_sub_u32 s1, s6, s1
	v_mul_u32_u24_e32 v2, 0xe39, v0
	s_subb_u32 s6, 0, s7
	s_mul_hi_u32 s7, s1, 18
	s_mul_i32 s1, s1, 18
	v_lshrrev_b32_e32 v48, 16, v2
	s_mul_i32 s3, s14, s1
	s_waitcnt lgkmcnt(0)
	s_mul_i32 s0, s22, s0
	v_mul_lo_u16_e32 v1, 18, v48
	s_mul_i32 s6, s6, 18
	s_add_i32 s0, s0, s3
	s_mul_i32 s2, s2, s26
	v_sub_u16_e32 v1, v0, v1
	s_add_i32 s6, s7, s6
	s_add_i32 s7, s2, s0
	v_mad_u64_u32 v[37:38], s[2:3], s14, v1, 0
	v_mov_b32_e32 v3, s6
	v_add_co_u32_e32 v39, vcc, s1, v1
	v_add_u32_e32 v38, 14, v48
	v_addc_co_u32_e32 v40, vcc, 0, v3, vcc
	s_add_u32 s0, s1, 18
	v_mul_lo_u32 v5, s12, v48
	v_mov_b32_e32 v3, s10
	v_mul_lo_u32 v47, s12, v38
	s_addc_u32 s1, s6, 0
	v_mov_b32_e32 v4, s11
	v_cmp_le_u64_e64 s[0:1], s[0:1], v[3:4]
	v_cmp_gt_u64_e32 vcc, s[10:11], v[39:40]
	v_add_lshl_u32 v3, v37, v5, 3
	s_or_b64 s[2:3], s[0:1], vcc
	v_add_u32_e32 v4, 0x7e, v48
	v_add_lshl_u32 v5, v37, v47, 3
	v_add_u32_e32 v46, 28, v48
	v_mul_lo_u32 v4, s12, v4
	v_cndmask_b32_e64 v12, -1, v5, s[2:3]
	v_mul_lo_u32 v6, s12, v46
	v_add_u32_e32 v5, 0x8c, v48
	v_or_b32_e32 v8, 0x70, v48
	v_mul_lo_u32 v7, s12, v5
	v_mul_lo_u32 v8, s12, v8
	v_add_lshl_u32 v4, v37, v4, 3
	v_add_lshl_u32 v6, v37, v6, 3
	s_lshl_b32 s13, s7, 3
	v_cndmask_b32_e64 v3, -1, v3, s[2:3]
	s_mov_b32 s11, 0x20000
	s_mov_b32 s10, -2
	v_cndmask_b32_e64 v4, -1, v4, s[2:3]
	v_add_lshl_u32 v7, v37, v7, 3
	v_cndmask_b32_e64 v16, -1, v6, s[2:3]
	v_add_lshl_u32 v6, v37, v8, 3
	buffer_load_dwordx2 v[4:5], v4, s[8:11], s13 offen
	v_cndmask_b32_e64 v17, -1, v7, s[2:3]
	v_cndmask_b32_e64 v13, -1, v6, s[2:3]
	buffer_load_dwordx2 v[6:7], v3, s[8:11], s13 offen
	buffer_load_dwordx2 v[8:9], v12, s[8:11], s13 offen
	;; [unrolled: 1-line block ×3, first 2 shown]
	v_add_u32_e32 v3, 42, v48
	v_add_u32_e32 v12, 0x9a, v48
	v_mul_lo_u32 v13, s12, v3
	v_mul_lo_u32 v12, s12, v12
	v_add_u32_e32 v36, 56, v48
	v_mul_lo_u32 v20, s12, v36
	v_add_lshl_u32 v13, v37, v13, 3
	v_add_lshl_u32 v12, v37, v12, 3
	v_cndmask_b32_e64 v21, -1, v13, s[2:3]
	v_add_u32_e32 v18, 0xa8, v48
	v_cndmask_b32_e64 v22, -1, v12, s[2:3]
	buffer_load_dwordx2 v[12:13], v16, s[8:11], s13 offen
	buffer_load_dwordx2 v[14:15], v17, s[8:11], s13 offen
	v_mul_lo_u32 v23, s12, v18
	buffer_load_dwordx2 v[16:17], v21, s[8:11], s13 offen
	buffer_load_dwordx2 v[18:19], v22, s[8:11], s13 offen
	v_add_u32_e32 v21, 0x46, v48
	v_mul_lo_u32 v21, s12, v21
	v_add_u32_e32 v22, 0xb6, v48
	v_mul_lo_u32 v22, s12, v22
	v_add_lshl_u32 v20, v37, v20, 3
	v_cndmask_b32_e64 v24, -1, v20, s[2:3]
	v_add_lshl_u32 v20, v37, v23, 3
	v_cndmask_b32_e64 v25, -1, v20, s[2:3]
	;; [unrolled: 2-line block ×4, first 2 shown]
	v_add_u32_e32 v20, 0x54, v48
	v_mul_lo_u32 v30, s12, v20
	v_add_u32_e32 v26, 0xc4, v48
	v_mul_lo_u32 v31, s12, v26
	buffer_load_dwordx2 v[20:21], v24, s[8:11], s13 offen
	buffer_load_dwordx2 v[22:23], v25, s[8:11], s13 offen
	s_nop 0
	buffer_load_dwordx2 v[24:25], v28, s[8:11], s13 offen
	buffer_load_dwordx2 v[26:27], v29, s[8:11], s13 offen
	v_add_lshl_u32 v28, v37, v30, 3
	v_cndmask_b32_e64 v32, -1, v28, s[2:3]
	v_add_lshl_u32 v28, v37, v31, 3
	v_cndmask_b32_e64 v33, -1, v28, s[2:3]
	v_add_u32_e32 v28, 0x62, v48
	v_mul_lo_u32 v34, s12, v28
	v_add_u32_e32 v28, 0xd2, v48
	v_mul_lo_u32 v35, s12, v28
	buffer_load_dwordx2 v[28:29], v32, s[8:11], s13 offen
	buffer_load_dwordx2 v[30:31], v33, s[8:11], s13 offen
	v_add_lshl_u32 v32, v37, v34, 3
	v_cndmask_b32_e64 v40, -1, v32, s[2:3]
	v_add_lshl_u32 v32, v37, v35, 3
	v_cndmask_b32_e64 v41, -1, v32, s[2:3]
	buffer_load_dwordx2 v[32:33], v40, s[8:11], s13 offen
	buffer_load_dwordx2 v[34:35], v41, s[8:11], s13 offen
	v_mul_u32_u24_e32 v40, 0x120, v48
	v_lshlrev_b32_e32 v1, 3, v1
	v_add3_u32 v40, 0, v40, v1
	v_add_u32_e32 v41, 0xc00, v40
	v_add_u32_e32 v42, 0x1c00, v40
	s_movk_i32 s6, 0x3f00
	v_lshlrev_b32_e32 v56, 2, v48
	s_movk_i32 s18, 0x48
	s_waitcnt vmcnt(13)
	v_sub_f32_e32 v4, v8, v4
	v_sub_f32_e32 v5, v9, v5
	s_waitcnt vmcnt(12)
	v_sub_f32_e32 v10, v6, v10
	v_sub_f32_e32 v11, v7, v11
	v_fma_f32 v8, v8, 2.0, -v4
	v_fma_f32 v9, v9, 2.0, -v5
	v_fma_f32 v6, v6, 2.0, -v10
	v_fma_f32 v7, v7, 2.0, -v11
	s_waitcnt vmcnt(10)
	v_sub_f32_e32 v14, v12, v14
	v_sub_f32_e32 v15, v13, v15
	v_fma_f32 v12, v12, 2.0, -v14
	v_fma_f32 v13, v13, 2.0, -v15
	ds_write2_b64 v41, v[8:9], v[4:5] offset0:120 offset1:138
	ds_write2_b64 v42, v[12:13], v[14:15] offset0:112 offset1:130
	ds_write2_b64 v40, v[6:7], v[10:11] offset1:18
	s_waitcnt vmcnt(8)
	v_sub_f32_e32 v6, v16, v18
	v_sub_f32_e32 v7, v17, v19
	v_fma_f32 v4, v16, 2.0, -v6
	v_fma_f32 v5, v17, 2.0, -v7
	ds_write_b64 v40, v[4:5] offset:12096
	v_add_u32_e32 v4, 0x2c00, v40
	ds_write2_b32 v4, v6, v7 offset0:244 offset1:245
	v_add_u32_e32 v8, 0x3c00, v40
	s_waitcnt vmcnt(6)
	v_sub_f32_e32 v4, v20, v22
	v_sub_f32_e32 v5, v21, v23
	v_fma_f32 v6, v20, 2.0, -v4
	v_fma_f32 v7, v21, 2.0, -v5
	ds_write2_b32 v8, v6, v7 offset0:192 offset1:193
	ds_write2_b32 v8, v4, v5 offset0:228 offset1:229
	s_waitcnt vmcnt(4)
	v_sub_f32_e32 v4, v24, v26
	v_sub_f32_e32 v5, v25, v27
	v_fma_f32 v6, v24, 2.0, -v4
	v_fma_f32 v7, v25, 2.0, -v5
	v_add_u32_e32 v8, 0x4800, v40
	ds_write2_b64 v8, v[6:7], v[4:5] offset0:216 offset1:234
	s_waitcnt vmcnt(2)
	v_sub_f32_e32 v4, v28, v30
	v_sub_f32_e32 v5, v29, v31
	v_fma_f32 v6, v28, 2.0, -v4
	v_fma_f32 v7, v29, 2.0, -v5
	v_add_u32_e32 v8, 0x5800, v40
	ds_write2_b64 v8, v[6:7], v[4:5] offset0:208 offset1:226
	s_waitcnt vmcnt(0)
	v_sub_f32_e32 v4, v32, v34
	v_sub_f32_e32 v5, v33, v35
	v_fma_f32 v6, v32, 2.0, -v4
	v_fma_f32 v7, v33, 2.0, -v5
	v_add_u32_e32 v8, 0x6800, v40
	v_bfe_u32 v21, v2, 16, 1
	ds_write2_b64 v8, v[6:7], v[4:5] offset0:200 offset1:218
	v_mul_u32_u24_e32 v4, 3, v21
	v_lshlrev_b32_e32 v4, 3, v4
	s_waitcnt lgkmcnt(0)
	s_barrier
	global_load_dwordx4 v[8:11], v4, s[16:17]
	global_load_dwordx2 v[5:6], v4, s[16:17] offset:16
	v_mul_u32_u24_e32 v4, 0x90, v48
	v_add3_u32 v7, 0, v4, v1
	v_add_u32_e32 v4, 0x3f00, v7
	ds_read2_b64 v[12:15], v4 offset1:252
	v_add_u32_e32 v35, 0x4ec0, v7
	v_add_u32_e32 v41, 0x6e40, v7
	v_and_or_b32 v57, v56, 56, v21
	v_mul_u32_u24_e32 v57, 0x90, v57
	v_add3_u32 v57, 0, v57, v1
	s_waitcnt vmcnt(1) lgkmcnt(0)
	v_mul_f32_e32 v4, v11, v13
	v_fma_f32 v20, v10, v12, -v4
	v_add_u32_e32 v4, 0x2f40, v7
	ds_read2_b64 v[16:19], v4 offset1:252
	v_mul_f32_e32 v22, v11, v12
	v_mul_f32_e32 v4, v15, v11
	;; [unrolled: 1-line block ×3, first 2 shown]
	v_fmac_f32_e32 v22, v10, v13
	v_fma_f32 v23, v14, v10, -v4
	v_fmac_f32_e32 v24, v15, v10
	ds_read2_b64 v[12:15], v35 offset1:252
	s_waitcnt lgkmcnt(1)
	v_mul_f32_e32 v4, v17, v9
	v_fma_f32 v25, v16, v8, -v4
	v_mul_f32_e32 v4, v19, v9
	v_fma_f32 v27, v18, v8, -v4
	s_waitcnt lgkmcnt(0)
	v_mul_f32_e32 v4, v13, v11
	v_fma_f32 v29, v12, v10, -v4
	v_mul_i32_i24_e32 v4, 0xffffff70, v36
	v_mul_f32_e32 v30, v12, v11
	v_add3_u32 v33, v40, s6, v4
	v_fmac_f32_e32 v30, v13, v10
	ds_read_b64 v[12:13], v33
	v_mul_f32_e32 v4, v15, v11
	v_fma_f32 v31, v14, v10, -v4
	v_mul_f32_e32 v26, v16, v9
	v_mul_f32_e32 v32, v14, v11
	s_waitcnt lgkmcnt(0)
	v_mul_f32_e32 v4, v9, v13
	v_fma_f32 v16, v8, v12, -v4
	v_add_u32_e32 v4, 0x2400, v7
	v_fmac_f32_e32 v26, v17, v8
	v_fmac_f32_e32 v32, v15, v10
	ds_read2_b32 v[14:15], v4 offset0:216 offset1:217
	v_mul_f32_e32 v17, v9, v12
	v_add_u32_e32 v36, 0x5e80, v7
	v_fmac_f32_e32 v17, v8, v13
	ds_read2_b64 v[10:13], v36 offset1:252
	v_mul_f32_e32 v28, v18, v9
	s_waitcnt lgkmcnt(1)
	v_mul_f32_e32 v18, v15, v9
	v_mul_f32_e32 v40, v9, v14
	v_fmac_f32_e32 v28, v19, v8
	v_fma_f32 v34, v8, v14, -v18
	v_fmac_f32_e32 v40, v15, v8
	s_waitcnt vmcnt(0) lgkmcnt(0)
	v_mul_f32_e32 v8, v6, v11
	v_mul_f32_e32 v15, v6, v10
	v_fma_f32 v14, v5, v10, -v8
	v_fmac_f32_e32 v15, v5, v11
	ds_read2_b64 v[8:11], v41 offset1:252
	v_mul_f32_e32 v18, v13, v6
	v_fma_f32 v42, v12, v5, -v18
	v_mul_f32_e32 v43, v12, v6
	v_fmac_f32_e32 v43, v13, v5
	s_waitcnt lgkmcnt(0)
	v_mul_f32_e32 v12, v9, v6
	v_mul_f32_e32 v45, v8, v6
	v_fma_f32 v44, v8, v5, -v12
	v_fmac_f32_e32 v45, v9, v5
	ds_read_b64 v[8:9], v7
	v_mul_f32_e32 v12, v11, v6
	v_mul_f32_e32 v50, v10, v6
	v_fma_f32 v49, v10, v5, -v12
	v_fmac_f32_e32 v50, v11, v5
	s_waitcnt lgkmcnt(0)
	v_sub_f32_e32 v13, v8, v20
	v_sub_f32_e32 v18, v9, v22
	;; [unrolled: 1-line block ×4, first 2 shown]
	v_fma_f32 v8, v8, 2.0, -v13
	v_fma_f32 v10, v9, 2.0, -v18
	;; [unrolled: 1-line block ×4, first 2 shown]
	v_sub_f32_e32 v5, v8, v5
	v_sub_f32_e32 v6, v10, v6
	;; [unrolled: 1-line block ×3, first 2 shown]
	v_add_f32_e32 v12, v18, v12
	v_fma_f32 v9, v8, 2.0, -v5
	v_fma_f32 v10, v10, 2.0, -v6
	;; [unrolled: 1-line block ×4, first 2 shown]
	v_add_u32_e32 v8, 0xffffe860, v33
	ds_read_b32 v22, v8 offset:2016
	ds_read_b32 v51, v8 offset:4036
	ds_read_b32 v52, v8
	ds_read_b32 v53, v8 offset:4
	ds_read_b64 v[15:16], v8
	ds_read_b32 v54, v8 offset:4032
	ds_read_b64 v[17:18], v8 offset:4032
	ds_read_b32 v55, v8 offset:2020
	ds_read_b64 v[19:20], v8 offset:2016
	s_waitcnt lgkmcnt(0)
	s_barrier
	ds_write2_b64 v57, v[9:10], v[13:14] offset1:36
	ds_write2_b64 v57, v[5:6], v[11:12] offset0:72 offset1:108
	v_sub_f32_e32 v11, v40, v43
	v_sub_f32_e32 v13, v15, v23
	;; [unrolled: 1-line block ×4, first 2 shown]
	v_fma_f32 v6, v40, 2.0, -v11
	s_movk_i32 s6, 0x78
	v_lshlrev_b32_e32 v40, 2, v38
	v_fma_f32 v9, v52, 2.0, -v13
	v_fma_f32 v10, v53, 2.0, -v14
	;; [unrolled: 1-line block ×3, first 2 shown]
	v_and_or_b32 v15, v40, s6, v21
	v_sub_f32_e32 v5, v9, v5
	v_sub_f32_e32 v6, v10, v6
	;; [unrolled: 1-line block ×3, first 2 shown]
	v_add_f32_e32 v12, v14, v12
	v_mul_u32_u24_e32 v15, 0x90, v15
	v_fma_f32 v9, v9, 2.0, -v5
	v_fma_f32 v10, v10, 2.0, -v6
	;; [unrolled: 1-line block ×4, first 2 shown]
	v_add3_u32 v15, 0, v15, v1
	ds_write2_b64 v15, v[9:10], v[13:14] offset1:36
	ds_write2_b64 v15, v[5:6], v[11:12] offset0:72 offset1:108
	v_sub_f32_e32 v13, v19, v29
	v_sub_f32_e32 v14, v20, v30
	;; [unrolled: 1-line block ×4, first 2 shown]
	s_movk_i32 s6, 0xf8
	v_lshlrev_b32_e32 v42, 2, v46
	v_fma_f32 v9, v22, 2.0, -v13
	v_fma_f32 v10, v55, 2.0, -v14
	;; [unrolled: 1-line block ×4, first 2 shown]
	v_and_or_b32 v15, v42, s6, v21
	v_sub_f32_e32 v5, v9, v5
	v_sub_f32_e32 v6, v10, v6
	;; [unrolled: 1-line block ×3, first 2 shown]
	v_add_f32_e32 v12, v14, v12
	v_mul_u32_u24_e32 v15, 0x90, v15
	v_fma_f32 v9, v9, 2.0, -v5
	v_fma_f32 v10, v10, 2.0, -v6
	v_fma_f32 v13, v13, 2.0, -v11
	v_fma_f32 v14, v14, 2.0, -v12
	v_add3_u32 v15, 0, v15, v1
	ds_write2_b64 v15, v[9:10], v[13:14] offset1:36
	ds_write2_b64 v15, v[5:6], v[11:12] offset0:72 offset1:108
	v_sub_f32_e32 v13, v17, v31
	v_sub_f32_e32 v14, v18, v32
	;; [unrolled: 1-line block ×4, first 2 shown]
	v_lshlrev_b32_e32 v43, 2, v3
	v_fma_f32 v9, v54, 2.0, -v13
	v_fma_f32 v10, v51, 2.0, -v14
	;; [unrolled: 1-line block ×4, first 2 shown]
	v_and_or_b32 v15, v43, s6, v21
	v_bfe_u32 v44, v2, 16, 3
	v_sub_f32_e32 v5, v9, v5
	v_sub_f32_e32 v6, v10, v6
	;; [unrolled: 1-line block ×3, first 2 shown]
	v_add_f32_e32 v12, v14, v12
	v_mul_u32_u24_e32 v15, 0x90, v15
	v_mul_u32_u24_e32 v2, 3, v44
	v_fma_f32 v9, v9, 2.0, -v5
	v_fma_f32 v10, v10, 2.0, -v6
	;; [unrolled: 1-line block ×4, first 2 shown]
	v_add3_u32 v15, 0, v15, v1
	v_lshlrev_b32_e32 v25, 3, v2
	ds_write2_b64 v15, v[9:10], v[13:14] offset1:36
	ds_write2_b64 v15, v[5:6], v[11:12] offset0:72 offset1:108
	s_waitcnt lgkmcnt(0)
	s_barrier
	global_load_dwordx4 v[9:12], v25, s[16:17] offset:48
	v_and_b32_e32 v45, 7, v3
	v_mul_u32_u24_e32 v2, 3, v45
	v_lshlrev_b32_e32 v26, 3, v2
	global_load_dwordx4 v[13:16], v26, s[16:17] offset:48
	v_and_b32_e32 v49, 7, v46
	v_mul_u32_u24_e32 v2, 3, v49
	v_lshlrev_b32_e32 v27, 3, v2
	;; [unrolled: 4-line block ×3, first 2 shown]
	global_load_dwordx4 v[21:24], v28, s[16:17] offset:48
	global_load_dwordx2 v[2:3], v25, s[16:17] offset:64
	global_load_dwordx2 v[5:6], v28, s[16:17] offset:64
	;; [unrolled: 1-line block ×4, first 2 shown]
	ds_read_b64 v[33:34], v33
	v_add_u32_e32 v25, 0x3720, v7
	ds_read2_b64 v[25:28], v25 offset1:252
	s_movk_i32 s6, 0x60
	s_waitcnt vmcnt(7) lgkmcnt(1)
	v_mul_f32_e32 v51, v10, v34
	v_fma_f32 v51, v9, v33, -v51
	v_mul_f32_e32 v33, v10, v33
	v_fmac_f32_e32 v33, v9, v34
	s_waitcnt lgkmcnt(0)
	v_mul_f32_e32 v9, v12, v28
	v_fma_f32 v34, v11, v27, -v9
	v_mul_f32_e32 v27, v12, v27
	v_fmac_f32_e32 v27, v11, v28
	ds_read2_b64 v[9:12], v35 offset1:252
	s_waitcnt vmcnt(6)
	v_mul_f32_e32 v28, v26, v14
	v_fma_f32 v28, v25, v13, -v28
	v_mul_f32_e32 v25, v25, v14
	v_fmac_f32_e32 v25, v26, v13
	s_waitcnt lgkmcnt(0)
	v_mul_f32_e32 v13, v12, v16
	v_fma_f32 v26, v11, v15, -v13
	v_mul_f32_e32 v35, v11, v16
	v_add_u32_e32 v11, 0x2760, v7
	v_fmac_f32_e32 v35, v12, v15
	ds_read2_b64 v[11:14], v11 offset1:252
	s_waitcnt vmcnt(5)
	v_mul_f32_e32 v15, v10, v20
	v_mul_f32_e32 v20, v9, v20
	v_fma_f32 v52, v9, v19, -v15
	v_fmac_f32_e32 v20, v10, v19
	s_waitcnt lgkmcnt(0)
	v_mul_f32_e32 v9, v14, v18
	v_mul_f32_e32 v53, v13, v18
	v_add_u32_e32 v10, 0x4400, v7
	v_fma_f32 v19, v13, v17, -v9
	v_fmac_f32_e32 v53, v14, v17
	s_waitcnt vmcnt(4)
	v_mul_f32_e32 v9, v22, v12
	ds_read2_b32 v[13:14], v10 offset0:184 offset1:185
	v_mul_f32_e32 v22, v22, v11
	v_fma_f32 v54, v21, v11, -v9
	v_fmac_f32_e32 v22, v21, v12
	ds_read2_b64 v[9:12], v36 offset1:252
	s_waitcnt lgkmcnt(1)
	v_mul_f32_e32 v15, v14, v24
	v_fma_f32 v21, v23, v13, -v15
	v_mul_f32_e32 v24, v24, v13
	v_fmac_f32_e32 v24, v14, v23
	s_waitcnt vmcnt(3) lgkmcnt(0)
	v_mul_f32_e32 v13, v3, v10
	v_fma_f32 v17, v2, v9, -v13
	ds_read2_b64 v[13:16], v41 offset1:252
	v_mul_f32_e32 v9, v3, v9
	v_fmac_f32_e32 v9, v2, v10
	s_waitcnt vmcnt(2)
	v_mul_f32_e32 v2, v12, v6
	v_fma_f32 v23, v11, v5, -v2
	s_waitcnt vmcnt(1) lgkmcnt(0)
	v_mul_f32_e32 v2, v14, v30
	v_fma_f32 v41, v13, v29, -v2
	ds_read_b64 v[2:3], v7
	v_mul_f32_e32 v36, v11, v6
	v_fmac_f32_e32 v36, v12, v5
	v_mul_f32_e32 v30, v13, v30
	s_waitcnt vmcnt(0)
	v_mul_f32_e32 v5, v16, v32
	s_waitcnt lgkmcnt(0)
	v_sub_f32_e32 v11, v2, v34
	v_sub_f32_e32 v12, v3, v27
	;; [unrolled: 1-line block ×4, first 2 shown]
	v_fmac_f32_e32 v30, v14, v29
	v_fma_f32 v29, v15, v31, -v5
	v_fma_f32 v5, v2, 2.0, -v11
	v_fma_f32 v6, v3, 2.0, -v12
	;; [unrolled: 1-line block ×4, first 2 shown]
	v_and_or_b32 v27, v56, 32, v44
	v_sub_f32_e32 v2, v5, v2
	v_sub_f32_e32 v3, v6, v3
	;; [unrolled: 1-line block ×3, first 2 shown]
	v_add_f32_e32 v10, v12, v10
	v_mul_u32_u24_e32 v27, 0x90, v27
	v_mul_f32_e32 v32, v15, v32
	v_fma_f32 v5, v5, 2.0, -v2
	v_fma_f32 v6, v6, 2.0, -v3
	;; [unrolled: 1-line block ×4, first 2 shown]
	v_add3_u32 v27, 0, v27, v1
	v_fmac_f32_e32 v32, v16, v31
	ds_read_b32 v31, v8 offset:2016
	ds_read_b32 v33, v8 offset:4036
	ds_read_b32 v34, v8
	ds_read_b32 v44, v8 offset:4
	ds_read_b64 v[13:14], v8
	ds_read_b32 v51, v8 offset:4032
	ds_read_b64 v[15:16], v8 offset:4032
	ds_read_b32 v55, v8 offset:2020
	ds_read_b64 v[17:18], v8 offset:2016
	s_waitcnt lgkmcnt(0)
	s_barrier
	ds_write2_b64 v27, v[5:6], v[11:12] offset1:144
	v_add_u32_e32 v5, 0x800, v27
	ds_write2_b64 v5, v[2:3], v[9:10] offset0:32 offset1:176
	v_sub_f32_e32 v11, v13, v21
	v_sub_f32_e32 v12, v14, v24
	;; [unrolled: 1-line block ×4, first 2 shown]
	v_fma_f32 v5, v34, 2.0, -v11
	v_fma_f32 v6, v44, 2.0, -v12
	;; [unrolled: 1-line block ×4, first 2 shown]
	v_and_or_b32 v13, v40, s6, v50
	v_sub_f32_e32 v2, v5, v2
	v_sub_f32_e32 v3, v6, v3
	;; [unrolled: 1-line block ×3, first 2 shown]
	v_add_f32_e32 v10, v12, v10
	v_mul_u32_u24_e32 v13, 0x90, v13
	v_fma_f32 v5, v5, 2.0, -v2
	v_fma_f32 v6, v6, 2.0, -v3
	;; [unrolled: 1-line block ×4, first 2 shown]
	v_add3_u32 v13, 0, v13, v1
	ds_write2_b64 v13, v[5:6], v[11:12] offset1:144
	v_add_u32_e32 v5, 0x800, v13
	ds_write2_b64 v5, v[2:3], v[9:10] offset0:32 offset1:176
	v_sub_f32_e32 v11, v17, v52
	v_sub_f32_e32 v12, v18, v20
	;; [unrolled: 1-line block ×4, first 2 shown]
	s_movk_i32 s6, 0xe0
	v_fma_f32 v5, v31, 2.0, -v11
	v_fma_f32 v6, v55, 2.0, -v12
	;; [unrolled: 1-line block ×4, first 2 shown]
	v_and_or_b32 v13, v42, s6, v49
	v_sub_f32_e32 v2, v5, v2
	v_sub_f32_e32 v3, v6, v3
	v_sub_f32_e32 v9, v11, v9
	v_add_f32_e32 v10, v12, v10
	v_mul_u32_u24_e32 v13, 0x90, v13
	v_fma_f32 v5, v5, 2.0, -v2
	v_fma_f32 v6, v6, 2.0, -v3
	;; [unrolled: 1-line block ×4, first 2 shown]
	v_add3_u32 v13, 0, v13, v1
	ds_write2_b64 v13, v[5:6], v[11:12] offset1:144
	v_add_u32_e32 v5, 0x800, v13
	ds_write2_b64 v5, v[2:3], v[9:10] offset0:32 offset1:176
	v_sub_f32_e32 v9, v15, v26
	v_sub_f32_e32 v6, v28, v29
	;; [unrolled: 1-line block ×3, first 2 shown]
	v_fma_f32 v2, v51, 2.0, -v9
	v_sub_f32_e32 v5, v25, v32
	v_fma_f32 v11, v28, 2.0, -v6
	v_fma_f32 v3, v33, 2.0, -v10
	;; [unrolled: 1-line block ×3, first 2 shown]
	v_sub_f32_e32 v40, v2, v11
	v_and_or_b32 v11, v43, s6, v45
	v_sub_f32_e32 v41, v3, v12
	v_sub_f32_e32 v5, v9, v5
	v_add_f32_e32 v6, v10, v6
	v_mul_u32_u24_e32 v11, 0x90, v11
	v_fma_f32 v2, v2, 2.0, -v40
	v_fma_f32 v3, v3, 2.0, -v41
	;; [unrolled: 1-line block ×4, first 2 shown]
	v_add3_u32 v1, 0, v11, v1
	ds_write2_b64 v1, v[2:3], v[9:10] offset1:144
	v_add_u32_e32 v1, 0x800, v1
	ds_write2_b64 v1, v[40:41], v[5:6] offset0:32 offset1:176
	v_add_u32_e32 v1, 0x3600, v7
	v_add_u32_e32 v2, 0x4800, v7
	;; [unrolled: 1-line block ×3, first 2 shown]
	s_waitcnt lgkmcnt(0)
	s_barrier
	v_add_u32_e32 v9, 0x6c00, v7
	ds_read_b64 v[42:43], v8
	ds_read_b64 v[44:45], v7 offset:6624
	ds_read2_b64 v[33:36], v4 offset1:252
	ds_read2_b64 v[29:32], v1 offset1:252
	;; [unrolled: 1-line block ×5, first 2 shown]
	ds_read2st64_b64 v[1:4], v7 offset1:9
	v_cmp_gt_u32_e64 s[6:7], s18, v0
                                        ; implicit-def: $vgpr16
                                        ; implicit-def: $vgpr12
	s_and_saveexec_b64 s[14:15], s[6:7]
	s_cbranch_execz .LBB0_8
; %bb.7:
	v_add_u32_e32 v5, 0x7e0, v8
	v_add_u32_e32 v9, 0x1c0, v7
	ds_read2_b32 v[40:41], v5 offset1:1
	ds_read2st64_b64 v[5:8], v9 offset0:16 offset1:25
	ds_read2st64_b64 v[13:16], v9 offset0:34 offset1:43
	;; [unrolled: 1-line block ×3, first 2 shown]
.LBB0_8:
	s_or_b64 exec, exec, s[14:15]
	v_mul_u32_u24_e32 v49, 6, v48
	v_lshlrev_b32_e32 v61, 3, v49
	global_load_dwordx4 v[49:52], v61, s[16:17] offset:272
	global_load_dwordx4 v[53:56], v61, s[16:17] offset:256
	;; [unrolled: 1-line block ×3, first 2 shown]
	s_mov_b32 s6, 0x3f5ff5aa
	s_mov_b32 s7, 0x3f3bfb3b
	;; [unrolled: 1-line block ×4, first 2 shown]
	s_load_dwordx2 s[4:5], s[4:5], 0x8
	s_waitcnt vmcnt(2) lgkmcnt(0)
	v_mul_f32_e32 v64, v50, v21
	s_waitcnt vmcnt(1)
	v_mul_f32_e32 v62, v56, v25
	s_waitcnt vmcnt(0)
	v_mul_f32_e32 v61, v58, v4
	v_fma_f32 v61, v57, v3, -v61
	v_mul_f32_e32 v3, v58, v3
	v_fmac_f32_e32 v3, v57, v4
	v_mul_f32_e32 v4, v60, v34
	v_fma_f32 v4, v59, v33, -v4
	v_mul_f32_e32 v33, v60, v33
	v_fmac_f32_e32 v33, v59, v34
	;; [unrolled: 4-line block ×3, first 2 shown]
	v_mul_f32_e32 v30, v56, v26
	v_fma_f32 v30, v55, v25, -v30
	v_mul_f32_e32 v25, v50, v22
	v_fma_f32 v63, v49, v21, -v25
	;; [unrolled: 2-line block ×3, first 2 shown]
	v_mul_f32_e32 v66, v52, v17
	v_mul_u32_u24_e32 v17, 6, v38
	v_lshlrev_b32_e32 v17, 3, v17
	v_fmac_f32_e32 v62, v55, v26
	v_fmac_f32_e32 v64, v49, v22
	;; [unrolled: 1-line block ×3, first 2 shown]
	global_load_dwordx4 v[49:52], v17, s[16:17] offset:272
	global_load_dwordx4 v[53:56], v17, s[16:17] offset:256
	;; [unrolled: 1-line block ×3, first 2 shown]
	s_waitcnt vmcnt(0)
	v_mul_f32_e32 v17, v58, v45
	v_fma_f32 v67, v57, v44, -v17
	v_mul_f32_e32 v44, v58, v44
	v_mul_f32_e32 v17, v60, v36
	v_fmac_f32_e32 v44, v57, v45
	v_fma_f32 v45, v59, v35, -v17
	v_mul_f32_e32 v35, v60, v35
	v_mul_f32_e32 v17, v32, v54
	v_fmac_f32_e32 v35, v59, v36
	v_fma_f32 v36, v31, v53, -v17
	v_mul_f32_e32 v31, v31, v54
	v_mul_f32_e32 v17, v28, v56
	v_fmac_f32_e32 v31, v32, v53
	v_fma_f32 v32, v27, v55, -v17
	v_mul_f32_e32 v17, v24, v50
	v_mul_f32_e32 v50, v23, v50
	;; [unrolled: 1-line block ×3, first 2 shown]
	v_fma_f32 v54, v23, v49, -v17
	v_fmac_f32_e32 v50, v24, v49
	v_mul_f32_e32 v17, v20, v52
	v_and_b32_e32 v49, 31, v46
	v_fmac_f32_e32 v53, v28, v55
	v_fma_f32 v55, v19, v51, -v17
	v_mul_f32_e32 v52, v19, v52
	v_mul_u32_u24_e32 v17, 6, v49
	v_fmac_f32_e32 v52, v20, v51
	v_lshlrev_b32_e32 v51, 3, v17
	global_load_dwordx4 v[17:20], v51, s[16:17] offset:272
	global_load_dwordx4 v[21:24], v51, s[16:17] offset:256
	global_load_dwordx4 v[25:28], v51, s[16:17] offset:240
	s_waitcnt vmcnt(2)
	v_mul_f32_e32 v72, v9, v18
	s_waitcnt vmcnt(1)
	v_mul_f32_e32 v68, v13, v22
	;; [unrolled: 2-line block ×3, first 2 shown]
	v_fma_f32 v56, v5, v25, -v51
	v_mul_f32_e32 v57, v5, v26
	v_mul_f32_e32 v5, v8, v28
	v_fma_f32 v58, v7, v27, -v5
	v_mul_f32_e32 v5, v14, v22
	v_fma_f32 v60, v13, v21, -v5
	;; [unrolled: 2-line block ×3, first 2 shown]
	v_mul_f32_e32 v5, v10, v18
	v_mul_f32_e32 v59, v7, v28
	v_fma_f32 v71, v9, v17, -v5
	v_mul_f32_e32 v5, v12, v20
	v_fmac_f32_e32 v59, v8, v27
	v_fma_f32 v73, v11, v19, -v5
	v_add_f32_e32 v5, v61, v65
	v_add_f32_e32 v8, v4, v63
	v_fmac_f32_e32 v57, v6, v25
	v_fmac_f32_e32 v68, v14, v21
	v_mul_f32_e32 v70, v15, v24
	v_fmac_f32_e32 v72, v10, v17
	v_mul_f32_e32 v74, v11, v20
	v_add_f32_e32 v6, v3, v66
	v_add_f32_e32 v9, v33, v64
	v_sub_f32_e32 v10, v33, v64
	v_add_f32_e32 v11, v34, v30
	v_sub_f32_e32 v14, v62, v29
	v_add_f32_e32 v15, v8, v5
	v_fmac_f32_e32 v70, v16, v23
	v_fmac_f32_e32 v74, v12, v19
	v_sub_f32_e32 v3, v3, v66
	v_sub_f32_e32 v4, v4, v63
	v_add_f32_e32 v12, v29, v62
	v_sub_f32_e32 v13, v30, v34
	v_add_f32_e32 v16, v9, v6
	v_sub_f32_e32 v17, v8, v5
	v_sub_f32_e32 v5, v5, v11
	;; [unrolled: 1-line block ×3, first 2 shown]
	v_add_f32_e32 v20, v14, v10
	v_add_f32_e32 v11, v11, v15
	v_sub_f32_e32 v7, v61, v65
	v_sub_f32_e32 v18, v9, v6
	;; [unrolled: 1-line block ×4, first 2 shown]
	v_add_f32_e32 v19, v13, v4
	v_sub_f32_e32 v22, v14, v10
	v_sub_f32_e32 v14, v3, v14
	;; [unrolled: 1-line block ×3, first 2 shown]
	v_add_f32_e32 v12, v12, v16
	v_add_f32_e32 v15, v20, v3
	;; [unrolled: 1-line block ×3, first 2 shown]
	v_sub_f32_e32 v21, v13, v4
	v_sub_f32_e32 v13, v7, v13
	;; [unrolled: 1-line block ×3, first 2 shown]
	v_add_f32_e32 v7, v19, v7
	v_add_f32_e32 v51, v12, v2
	v_mul_f32_e32 v19, 0xbf08b237, v22
	v_mov_b32_e32 v22, v3
	v_mul_f32_e32 v1, 0x3f4a47b2, v5
	v_mul_f32_e32 v5, 0x3d64c772, v8
	;; [unrolled: 1-line block ×4, first 2 shown]
	v_fmac_f32_e32 v22, 0xbf955555, v11
	v_mov_b32_e32 v11, v51
	v_mul_f32_e32 v2, 0x3f4a47b2, v6
	v_mul_f32_e32 v6, 0x3d64c772, v9
	v_fmac_f32_e32 v11, 0xbf955555, v12
	v_fma_f32 v5, v17, s7, -v5
	v_fma_f32 v12, v17, s14, -v1
	v_fmac_f32_e32 v1, 0x3d64c772, v8
	v_fma_f32 v10, v10, s6, -v19
	v_fmac_f32_e32 v19, 0x3eae86e6, v14
	v_fma_f32 v14, v14, s15, -v21
	v_mul_f32_e32 v20, 0x3f5ff5aa, v4
	v_fma_f32 v6, v18, s7, -v6
	v_fma_f32 v8, v18, s14, -v2
	v_fmac_f32_e32 v2, 0x3d64c772, v9
	v_fma_f32 v17, v4, s6, -v16
	v_fmac_f32_e32 v16, 0x3eae86e6, v13
	v_add_f32_e32 v1, v1, v22
	v_add_f32_e32 v18, v5, v22
	;; [unrolled: 1-line block ×3, first 2 shown]
	v_fmac_f32_e32 v19, 0x3ee1c552, v15
	v_fmac_f32_e32 v10, 0x3ee1c552, v15
	;; [unrolled: 1-line block ×3, first 2 shown]
	v_fma_f32 v13, v13, s15, -v20
	v_add_f32_e32 v2, v2, v11
	v_add_f32_e32 v20, v6, v11
	;; [unrolled: 1-line block ×3, first 2 shown]
	v_fmac_f32_e32 v16, 0x3ee1c552, v7
	v_fmac_f32_e32 v17, 0x3ee1c552, v7
	v_add_f32_e32 v4, v19, v1
	v_add_f32_e32 v6, v14, v12
	v_sub_f32_e32 v8, v18, v10
	v_add_f32_e32 v10, v10, v18
	v_sub_f32_e32 v12, v12, v14
	v_sub_f32_e32 v14, v1, v19
	v_add_f32_e32 v1, v67, v55
	v_add_f32_e32 v18, v45, v54
	v_fmac_f32_e32 v13, 0x3ee1c552, v7
	v_sub_f32_e32 v5, v2, v16
	v_add_f32_e32 v9, v17, v20
	v_sub_f32_e32 v11, v20, v17
	v_add_f32_e32 v15, v16, v2
	v_add_f32_e32 v2, v44, v52
	;; [unrolled: 1-line block ×3, first 2 shown]
	v_sub_f32_e32 v20, v45, v54
	v_add_f32_e32 v22, v36, v32
	v_sub_f32_e32 v24, v32, v36
	v_add_f32_e32 v26, v18, v1
	;; [unrolled: 2-line block ×3, first 2 shown]
	v_sub_f32_e32 v16, v67, v55
	v_sub_f32_e32 v21, v35, v50
	v_add_f32_e32 v23, v31, v53
	v_sub_f32_e32 v25, v53, v31
	v_add_f32_e32 v27, v19, v2
	v_sub_f32_e32 v28, v18, v1
	v_sub_f32_e32 v1, v1, v22
	;; [unrolled: 1-line block ×3, first 2 shown]
	v_add_f32_e32 v30, v24, v20
	v_add_f32_e32 v22, v22, v26
	v_sub_f32_e32 v17, v44, v52
	v_sub_f32_e32 v29, v19, v2
	;; [unrolled: 1-line block ×4, first 2 shown]
	v_add_f32_e32 v31, v25, v21
	v_sub_f32_e32 v32, v24, v20
	v_sub_f32_e32 v24, v16, v24
	v_sub_f32_e32 v20, v20, v16
	v_add_f32_e32 v23, v23, v27
	v_add_f32_e32 v26, v30, v16
	;; [unrolled: 1-line block ×3, first 2 shown]
	v_sub_f32_e32 v33, v25, v21
	v_sub_f32_e32 v25, v17, v25
	;; [unrolled: 1-line block ×3, first 2 shown]
	v_add_f32_e32 v27, v31, v17
	v_add_f32_e32 v17, v23, v43
	v_mov_b32_e32 v36, v16
	v_mul_f32_e32 v1, 0x3f4a47b2, v1
	v_mul_f32_e32 v2, 0x3f4a47b2, v2
	;; [unrolled: 1-line block ×7, first 2 shown]
	v_fmac_f32_e32 v36, 0xbf955555, v22
	v_mov_b32_e32 v22, v17
	v_mul_f32_e32 v34, 0x3f5ff5aa, v20
	v_fmac_f32_e32 v22, 0xbf955555, v23
	v_fma_f32 v23, v28, s7, -v30
	v_fma_f32 v30, v29, s7, -v31
	;; [unrolled: 1-line block ×3, first 2 shown]
	v_fmac_f32_e32 v1, 0x3d64c772, v18
	v_fma_f32 v18, v29, s14, -v2
	v_fmac_f32_e32 v2, 0x3d64c772, v19
	v_fma_f32 v29, v20, s6, -v32
	;; [unrolled: 2-line block ×4, first 2 shown]
	v_fma_f32 v34, v24, s15, -v34
	v_add_f32_e32 v1, v1, v36
	v_add_f32_e32 v2, v2, v22
	;; [unrolled: 1-line block ×4, first 2 shown]
	v_fmac_f32_e32 v32, 0x3ee1c552, v26
	v_fmac_f32_e32 v33, 0x3ee1c552, v27
	;; [unrolled: 1-line block ×4, first 2 shown]
	v_add_f32_e32 v24, v23, v36
	v_add_f32_e32 v30, v18, v22
	v_fmac_f32_e32 v34, 0x3ee1c552, v26
	v_add_f32_e32 v18, v33, v1
	v_sub_f32_e32 v19, v2, v32
	v_add_f32_e32 v20, v35, v28
	v_add_f32_e32 v23, v29, v25
	v_sub_f32_e32 v25, v25, v29
	v_sub_f32_e32 v26, v28, v35
	v_sub_f32_e32 v28, v1, v33
	v_add_f32_e32 v29, v32, v2
	v_add_f32_e32 v1, v56, v73
	;; [unrolled: 1-line block ×3, first 2 shown]
	v_fmac_f32_e32 v31, 0x3ee1c552, v27
	v_sub_f32_e32 v21, v30, v34
	v_add_f32_e32 v27, v34, v30
	v_add_f32_e32 v2, v57, v74
	;; [unrolled: 1-line block ×3, first 2 shown]
	v_sub_f32_e32 v34, v58, v71
	v_add_f32_e32 v36, v60, v69
	v_sub_f32_e32 v43, v69, v60
	v_add_f32_e32 v45, v32, v1
	v_sub_f32_e32 v30, v56, v73
	v_sub_f32_e32 v35, v59, v72
	v_add_f32_e32 v42, v68, v70
	v_sub_f32_e32 v44, v70, v68
	v_add_f32_e32 v50, v33, v2
	v_sub_f32_e32 v52, v32, v1
	v_sub_f32_e32 v1, v1, v36
	;; [unrolled: 1-line block ×3, first 2 shown]
	v_add_f32_e32 v54, v43, v34
	v_add_f32_e32 v36, v36, v45
	v_sub_f32_e32 v22, v24, v31
	v_add_f32_e32 v24, v31, v24
	v_sub_f32_e32 v31, v57, v74
	v_sub_f32_e32 v53, v33, v2
	v_sub_f32_e32 v2, v2, v42
	v_sub_f32_e32 v33, v42, v33
	v_add_f32_e32 v55, v44, v35
	v_sub_f32_e32 v56, v43, v34
	v_sub_f32_e32 v43, v30, v43
	;; [unrolled: 1-line block ×3, first 2 shown]
	v_add_f32_e32 v42, v42, v50
	v_add_f32_e32 v45, v54, v30
	;; [unrolled: 1-line block ×3, first 2 shown]
	v_sub_f32_e32 v57, v44, v35
	v_sub_f32_e32 v44, v31, v44
	;; [unrolled: 1-line block ×3, first 2 shown]
	v_add_f32_e32 v50, v55, v31
	v_add_f32_e32 v31, v41, v42
	v_mov_b32_e32 v58, v30
	v_mul_f32_e32 v1, 0x3f4a47b2, v1
	v_mul_f32_e32 v2, 0x3f4a47b2, v2
	;; [unrolled: 1-line block ×4, first 2 shown]
	v_fmac_f32_e32 v58, 0xbf955555, v36
	v_mov_b32_e32 v36, v31
	v_mul_f32_e32 v56, 0x3f5ff5aa, v34
	v_fmac_f32_e32 v36, 0xbf955555, v42
	v_fma_f32 v40, v52, s7, -v40
	v_fma_f32 v42, v52, s14, -v1
	v_fmac_f32_e32 v1, 0x3d64c772, v32
	v_fma_f32 v32, v53, s14, -v2
	v_fmac_f32_e32 v2, 0x3d64c772, v33
	;; [unrolled: 2-line block ×3, first 2 shown]
	v_fma_f32 v56, v43, s15, -v56
	v_add_f32_e32 v2, v2, v36
	v_fmac_f32_e32 v54, 0x3ee1c552, v45
	v_mul_f32_e32 v41, 0x3d64c772, v33
	v_fmac_f32_e32 v52, 0x3ee1c552, v45
	v_fmac_f32_e32 v56, 0x3ee1c552, v45
	v_sub_f32_e32 v33, v2, v54
	v_add_f32_e32 v45, v54, v2
	v_mul_lo_u32 v54, v39, v48
	v_mul_f32_e32 v55, 0xbf08b237, v57
	v_mul_f32_e32 v57, 0x3f5ff5aa, v35
	v_fma_f32 v41, v53, s7, -v41
	v_fma_f32 v53, v35, s6, -v55
	v_fmac_f32_e32 v55, 0x3eae86e6, v44
	v_fma_f32 v43, v44, s15, -v57
	v_add_f32_e32 v57, v41, v36
	v_add_f32_e32 v1, v1, v58
	;; [unrolled: 1-line block ×4, first 2 shown]
	v_fmac_f32_e32 v55, 0x3ee1c552, v50
	v_fmac_f32_e32 v53, 0x3ee1c552, v50
	v_add_f32_e32 v40, v52, v57
	v_sub_f32_e32 v42, v57, v52
	v_mov_b32_e32 v57, 3
	v_add_f32_e32 v59, v32, v36
	v_add_f32_e32 v32, v55, v1
	v_sub_f32_e32 v36, v44, v53
	v_add_f32_e32 v41, v53, v44
	v_sub_f32_e32 v44, v1, v55
	v_lshlrev_b32_sdwa v1, v57, v54 dst_sel:DWORD dst_unused:UNUSED_PAD src0_sel:DWORD src1_sel:BYTE_0
	v_lshlrev_b32_sdwa v52, v57, v54 dst_sel:DWORD dst_unused:UNUSED_PAD src0_sel:DWORD src1_sel:BYTE_1
	global_load_dwordx2 v[1:2], v1, s[4:5]
	v_fmac_f32_e32 v43, 0x3ee1c552, v50
	global_load_dwordx2 v[52:53], v52, s[4:5] offset:2048
	v_add_f32_e32 v34, v43, v58
	v_sub_f32_e32 v43, v58, v43
	v_mov_b32_e32 v58, 0x1000
	v_sub_f32_e32 v35, v59, v56
	v_add_f32_e32 v50, v56, v59
	s_waitcnt vmcnt(0)
	v_mul_f32_e32 v55, v2, v53
	v_fma_f32 v55, v1, v52, -v55
	v_mul_f32_e32 v53, v1, v53
	v_bfe_u32 v1, v54, 16, 8
	v_lshl_or_b32 v1, v1, 3, v58
	v_fmac_f32_e32 v53, v2, v52
	global_load_dwordx2 v[1:2], v1, s[4:5]
	s_waitcnt vmcnt(0)
	v_mul_f32_e32 v52, v53, v2
	v_mul_f32_e32 v2, v55, v2
	v_fmac_f32_e32 v2, v1, v53
	v_fma_f32 v52, v1, v55, -v52
	v_mul_f32_e32 v1, v51, v2
	v_fma_f32 v1, v3, v52, -v1
	v_mul_f32_e32 v2, v3, v2
	v_or_b32_e32 v3, 32, v48
	v_mul_lo_u32 v3, v39, v3
	v_fmac_f32_e32 v2, v51, v52
	v_lshlrev_b32_sdwa v51, v57, v3 dst_sel:DWORD dst_unused:UNUSED_PAD src0_sel:DWORD src1_sel:BYTE_0
	v_lshlrev_b32_sdwa v53, v57, v3 dst_sel:DWORD dst_unused:UNUSED_PAD src0_sel:DWORD src1_sel:BYTE_1
	global_load_dwordx2 v[51:52], v51, s[4:5]
	v_bfe_u32 v3, v3, 16, 8
	global_load_dwordx2 v[53:54], v53, s[4:5] offset:2048
	v_lshl_or_b32 v3, v3, 3, v58
	s_waitcnt vmcnt(0)
	v_mul_f32_e32 v55, v52, v54
	v_mul_f32_e32 v54, v51, v54
	v_fma_f32 v55, v51, v53, -v55
	v_fmac_f32_e32 v54, v52, v53
	global_load_dwordx2 v[51:52], v3, s[4:5]
	s_waitcnt vmcnt(0)
	v_mul_f32_e32 v3, v54, v52
	v_mul_f32_e32 v52, v55, v52
	v_fmac_f32_e32 v52, v51, v54
	v_fma_f32 v53, v51, v55, -v3
	v_mul_f32_e32 v3, v5, v52
	v_fma_f32 v3, v4, v53, -v3
	v_mul_f32_e32 v4, v4, v52
	v_fmac_f32_e32 v4, v5, v53
	v_or_b32_e32 v5, 64, v48
	v_mul_lo_u32 v5, v39, v5
	v_lshlrev_b32_sdwa v51, v57, v5 dst_sel:DWORD dst_unused:UNUSED_PAD src0_sel:DWORD src1_sel:BYTE_0
	v_lshlrev_b32_sdwa v53, v57, v5 dst_sel:DWORD dst_unused:UNUSED_PAD src0_sel:DWORD src1_sel:BYTE_1
	global_load_dwordx2 v[51:52], v51, s[4:5]
	v_bfe_u32 v5, v5, 16, 8
	global_load_dwordx2 v[53:54], v53, s[4:5] offset:2048
	v_lshl_or_b32 v5, v5, 3, v58
	s_waitcnt vmcnt(0)
	v_mul_f32_e32 v55, v52, v54
	v_mul_f32_e32 v54, v51, v54
	v_fma_f32 v55, v51, v53, -v55
	v_fmac_f32_e32 v54, v52, v53
	global_load_dwordx2 v[51:52], v5, s[4:5]
	s_waitcnt vmcnt(0)
	v_mul_f32_e32 v5, v54, v52
	v_mul_f32_e32 v52, v55, v52
	v_fmac_f32_e32 v52, v51, v54
	v_fma_f32 v53, v51, v55, -v5
	v_mul_f32_e32 v5, v7, v52
	v_fma_f32 v5, v6, v53, -v5
	v_mul_f32_e32 v6, v6, v52
	v_fmac_f32_e32 v6, v7, v53
	v_or_b32_e32 v7, 0x60, v48
	v_mul_lo_u32 v7, v39, v7
	;; [unrolled: 23-line block ×5, first 2 shown]
	v_lshlrev_b32_sdwa v51, v57, v13 dst_sel:DWORD dst_unused:UNUSED_PAD src0_sel:DWORD src1_sel:BYTE_0
	v_lshlrev_b32_sdwa v53, v57, v13 dst_sel:DWORD dst_unused:UNUSED_PAD src0_sel:DWORD src1_sel:BYTE_1
	global_load_dwordx2 v[51:52], v51, s[4:5]
	v_bfe_u32 v13, v13, 16, 8
	global_load_dwordx2 v[53:54], v53, s[4:5] offset:2048
	v_lshl_or_b32 v13, v13, 3, v58
	s_waitcnt vmcnt(0)
	v_mul_f32_e32 v55, v52, v54
	v_mul_f32_e32 v54, v51, v54
	v_fma_f32 v55, v51, v53, -v55
	v_fmac_f32_e32 v54, v52, v53
	global_load_dwordx2 v[51:52], v13, s[4:5]
	s_waitcnt vmcnt(0)
	v_mul_f32_e32 v13, v54, v52
	v_mul_f32_e32 v52, v55, v52
	v_fmac_f32_e32 v52, v51, v54
	v_fma_f32 v53, v51, v55, -v13
	v_mul_f32_e32 v13, v15, v52
	v_fma_f32 v13, v14, v53, -v13
	v_mul_f32_e32 v14, v14, v52
	v_fmac_f32_e32 v14, v15, v53
	v_mul_lo_u32 v15, v39, v38
	v_lshlrev_b32_sdwa v51, v57, v15 dst_sel:DWORD dst_unused:UNUSED_PAD src0_sel:DWORD src1_sel:BYTE_0
	v_lshlrev_b32_sdwa v53, v57, v15 dst_sel:DWORD dst_unused:UNUSED_PAD src0_sel:DWORD src1_sel:BYTE_1
	global_load_dwordx2 v[51:52], v51, s[4:5]
	v_bfe_u32 v15, v15, 16, 8
	global_load_dwordx2 v[53:54], v53, s[4:5] offset:2048
	v_lshl_or_b32 v15, v15, 3, v58
	s_waitcnt vmcnt(0)
	v_mul_f32_e32 v55, v52, v54
	v_mul_f32_e32 v54, v51, v54
	v_fma_f32 v55, v51, v53, -v55
	v_fmac_f32_e32 v54, v52, v53
	global_load_dwordx2 v[51:52], v15, s[4:5]
	s_waitcnt vmcnt(0)
	v_mul_f32_e32 v15, v54, v52
	v_mul_f32_e32 v52, v55, v52
	v_fmac_f32_e32 v52, v51, v54
	v_fma_f32 v53, v51, v55, -v15
	v_mul_f32_e32 v15, v17, v52
	v_fma_f32 v15, v16, v53, -v15
	v_mul_f32_e32 v16, v16, v52
	v_or_b32_e32 v51, 32, v38
	v_fmac_f32_e32 v16, v17, v53
	v_mul_lo_u32 v17, v39, v51
	v_lshlrev_b32_sdwa v52, v57, v17 dst_sel:DWORD dst_unused:UNUSED_PAD src0_sel:DWORD src1_sel:BYTE_0
	v_lshlrev_b32_sdwa v54, v57, v17 dst_sel:DWORD dst_unused:UNUSED_PAD src0_sel:DWORD src1_sel:BYTE_1
	global_load_dwordx2 v[52:53], v52, s[4:5]
	v_bfe_u32 v17, v17, 16, 8
	global_load_dwordx2 v[54:55], v54, s[4:5] offset:2048
	v_lshl_or_b32 v17, v17, 3, v58
	s_waitcnt vmcnt(0)
	v_mul_f32_e32 v56, v53, v55
	v_mul_f32_e32 v55, v52, v55
	v_fma_f32 v56, v52, v54, -v56
	v_fmac_f32_e32 v55, v53, v54
	global_load_dwordx2 v[52:53], v17, s[4:5]
	s_waitcnt vmcnt(0)
	v_mul_f32_e32 v17, v55, v53
	v_mul_f32_e32 v53, v56, v53
	v_fmac_f32_e32 v53, v52, v55
	v_fma_f32 v54, v52, v56, -v17
	v_mul_f32_e32 v17, v19, v53
	v_fma_f32 v17, v18, v54, -v17
	v_mul_f32_e32 v18, v18, v53
	v_or_b32_e32 v52, 64, v38
	;; [unrolled: 23-line block ×5, first 2 shown]
	v_fmac_f32_e32 v24, v25, v59
	v_mul_lo_u32 v25, v39, v55
	v_lshlrev_b32_sdwa v56, v57, v25 dst_sel:DWORD dst_unused:UNUSED_PAD src0_sel:DWORD src1_sel:BYTE_0
	global_load_dwordx2 v[59:60], v56, s[4:5]
	v_lshlrev_b32_sdwa v56, v57, v25 dst_sel:DWORD dst_unused:UNUSED_PAD src0_sel:DWORD src1_sel:BYTE_1
	global_load_dwordx2 v[61:62], v56, s[4:5] offset:2048
	v_bfe_u32 v25, v25, 16, 8
	v_lshl_or_b32 v25, v25, 3, v58
	s_waitcnt vmcnt(0)
	v_mul_f32_e32 v56, v60, v62
	v_mul_f32_e32 v62, v59, v62
	v_fma_f32 v56, v59, v61, -v56
	v_fmac_f32_e32 v62, v60, v61
	global_load_dwordx2 v[59:60], v25, s[4:5]
	s_waitcnt vmcnt(0)
	v_mul_f32_e32 v25, v62, v60
	v_fma_f32 v61, v59, v56, -v25
	v_mul_f32_e32 v56, v56, v60
	v_fmac_f32_e32 v56, v59, v62
	v_mul_f32_e32 v25, v27, v56
	v_fma_f32 v25, v26, v61, -v25
	v_mul_f32_e32 v26, v26, v56
	v_or_b32_e32 v56, 0xc0, v38
	v_fmac_f32_e32 v26, v27, v61
	v_mul_lo_u32 v27, v39, v56
	v_lshlrev_b32_sdwa v38, v57, v27 dst_sel:DWORD dst_unused:UNUSED_PAD src0_sel:DWORD src1_sel:BYTE_0
	global_load_dwordx2 v[59:60], v38, s[4:5]
	v_lshlrev_b32_sdwa v38, v57, v27 dst_sel:DWORD dst_unused:UNUSED_PAD src0_sel:DWORD src1_sel:BYTE_1
	global_load_dwordx2 v[61:62], v38, s[4:5] offset:2048
	v_bfe_u32 v27, v27, 16, 8
	v_lshl_or_b32 v27, v27, 3, v58
	s_waitcnt vmcnt(0)
	v_mul_f32_e32 v38, v60, v62
	v_mul_f32_e32 v62, v59, v62
	v_fma_f32 v38, v59, v61, -v38
	v_fmac_f32_e32 v62, v60, v61
	global_load_dwordx2 v[59:60], v27, s[4:5]
	s_waitcnt vmcnt(0)
	v_mul_f32_e32 v27, v62, v60
	v_fma_f32 v61, v59, v38, -v27
	v_mul_f32_e32 v38, v38, v60
	v_fmac_f32_e32 v38, v59, v62
	v_mul_f32_e32 v27, v29, v38
	v_fma_f32 v27, v28, v61, -v27
	v_mul_f32_e32 v28, v28, v38
	v_fmac_f32_e32 v28, v29, v61
	v_mul_lo_u32 v29, v39, v49
	v_lshlrev_b32_sdwa v38, v57, v29 dst_sel:DWORD dst_unused:UNUSED_PAD src0_sel:DWORD src1_sel:BYTE_0
	global_load_dwordx2 v[59:60], v38, s[4:5]
	v_lshlrev_b32_sdwa v38, v57, v29 dst_sel:DWORD dst_unused:UNUSED_PAD src0_sel:DWORD src1_sel:BYTE_1
	global_load_dwordx2 v[61:62], v38, s[4:5] offset:2048
	v_bfe_u32 v29, v29, 16, 8
	v_lshl_or_b32 v29, v29, 3, v58
	s_waitcnt vmcnt(0)
	v_mul_f32_e32 v38, v60, v62
	v_mul_f32_e32 v62, v59, v62
	v_fma_f32 v38, v59, v61, -v38
	v_fmac_f32_e32 v62, v60, v61
	global_load_dwordx2 v[59:60], v29, s[4:5]
	s_waitcnt vmcnt(0)
	v_mul_f32_e32 v29, v62, v60
	v_fma_f32 v61, v59, v38, -v29
	v_mul_f32_e32 v38, v38, v60
	v_fmac_f32_e32 v38, v59, v62
	v_mul_f32_e32 v29, v31, v38
	v_fma_f32 v29, v30, v61, -v29
	v_mul_f32_e32 v30, v30, v38
	v_fmac_f32_e32 v30, v31, v61
	v_or_b32_e32 v31, 32, v49
	v_mul_lo_u32 v31, v39, v31
	v_lshlrev_b32_sdwa v38, v57, v31 dst_sel:DWORD dst_unused:UNUSED_PAD src0_sel:DWORD src1_sel:BYTE_0
	global_load_dwordx2 v[59:60], v38, s[4:5]
	v_lshlrev_b32_sdwa v38, v57, v31 dst_sel:DWORD dst_unused:UNUSED_PAD src0_sel:DWORD src1_sel:BYTE_1
	global_load_dwordx2 v[61:62], v38, s[4:5] offset:2048
	v_bfe_u32 v31, v31, 16, 8
	v_lshl_or_b32 v31, v31, 3, v58
	s_waitcnt vmcnt(0)
	v_mul_f32_e32 v38, v60, v62
	v_mul_f32_e32 v62, v59, v62
	v_fma_f32 v38, v59, v61, -v38
	v_fmac_f32_e32 v62, v60, v61
	global_load_dwordx2 v[59:60], v31, s[4:5]
	s_waitcnt vmcnt(0)
	v_mul_f32_e32 v31, v62, v60
	v_fma_f32 v61, v59, v38, -v31
	v_mul_f32_e32 v38, v38, v60
	v_fmac_f32_e32 v38, v59, v62
	v_mul_f32_e32 v31, v33, v38
	v_fma_f32 v31, v32, v61, -v31
	v_mul_f32_e32 v32, v32, v38
	v_fmac_f32_e32 v32, v33, v61
	v_or_b32_e32 v33, 64, v49
	;; [unrolled: 23-line block ×3, first 2 shown]
	v_mul_lo_u32 v35, v39, v35
	v_lshlrev_b32_sdwa v38, v57, v35 dst_sel:DWORD dst_unused:UNUSED_PAD src0_sel:DWORD src1_sel:BYTE_0
	global_load_dwordx2 v[59:60], v38, s[4:5]
	v_lshlrev_b32_sdwa v38, v57, v35 dst_sel:DWORD dst_unused:UNUSED_PAD src0_sel:DWORD src1_sel:BYTE_1
	global_load_dwordx2 v[61:62], v38, s[4:5] offset:2048
	v_bfe_u32 v35, v35, 16, 8
	v_lshl_or_b32 v35, v35, 3, v58
	s_waitcnt vmcnt(0)
	v_mul_f32_e32 v38, v60, v62
	v_mul_f32_e32 v62, v59, v62
	v_fma_f32 v38, v59, v61, -v38
	v_fmac_f32_e32 v62, v60, v61
	global_load_dwordx2 v[59:60], v35, s[4:5]
	s_waitcnt vmcnt(0)
	v_mul_f32_e32 v35, v62, v60
	v_fma_f32 v61, v59, v38, -v35
	v_mul_f32_e32 v38, v38, v60
	v_fmac_f32_e32 v38, v59, v62
	v_mul_f32_e32 v35, v40, v38
	v_fma_f32 v35, v36, v61, -v35
	v_mul_f32_e32 v36, v36, v38
	v_or_b32_e32 v38, 0x80, v49
	v_mul_lo_u32 v38, v39, v38
	v_fmac_f32_e32 v36, v40, v61
	v_lshlrev_b32_sdwa v40, v57, v38 dst_sel:DWORD dst_unused:UNUSED_PAD src0_sel:DWORD src1_sel:BYTE_0
	global_load_dwordx2 v[59:60], v40, s[4:5]
	v_lshlrev_b32_sdwa v40, v57, v38 dst_sel:DWORD dst_unused:UNUSED_PAD src0_sel:DWORD src1_sel:BYTE_1
	global_load_dwordx2 v[61:62], v40, s[4:5] offset:2048
	v_bfe_u32 v38, v38, 16, 8
	v_lshl_or_b32 v38, v38, 3, v58
	s_waitcnt vmcnt(0)
	v_mul_f32_e32 v40, v60, v62
	v_mul_f32_e32 v62, v59, v62
	v_fma_f32 v40, v59, v61, -v40
	v_fmac_f32_e32 v62, v60, v61
	global_load_dwordx2 v[59:60], v38, s[4:5]
	s_waitcnt vmcnt(0)
	v_mul_f32_e32 v38, v62, v60
	v_mul_f32_e32 v60, v40, v60
	v_fmac_f32_e32 v60, v59, v62
	v_fma_f32 v38, v59, v40, -v38
	v_mul_f32_e32 v40, v42, v60
	v_fma_f32 v40, v41, v38, -v40
	v_mul_f32_e32 v41, v41, v60
	v_fmac_f32_e32 v41, v42, v38
	v_or_b32_e32 v38, 0xa0, v49
	v_mul_lo_u32 v38, v39, v38
	v_lshlrev_b32_sdwa v42, v57, v38 dst_sel:DWORD dst_unused:UNUSED_PAD src0_sel:DWORD src1_sel:BYTE_0
	global_load_dwordx2 v[59:60], v42, s[4:5]
	v_lshlrev_b32_sdwa v42, v57, v38 dst_sel:DWORD dst_unused:UNUSED_PAD src0_sel:DWORD src1_sel:BYTE_1
	global_load_dwordx2 v[61:62], v42, s[4:5] offset:2048
	v_bfe_u32 v38, v38, 16, 8
	v_lshl_or_b32 v38, v38, 3, v58
	s_waitcnt vmcnt(0)
	v_mul_f32_e32 v42, v60, v62
	v_mul_f32_e32 v62, v59, v62
	v_fma_f32 v42, v59, v61, -v42
	v_fmac_f32_e32 v62, v60, v61
	global_load_dwordx2 v[59:60], v38, s[4:5]
	s_waitcnt vmcnt(0)
	v_mul_f32_e32 v38, v62, v60
	v_mul_f32_e32 v60, v42, v60
	v_fmac_f32_e32 v60, v59, v62
	v_fma_f32 v38, v59, v42, -v38
	v_mul_f32_e32 v42, v50, v60
	v_fma_f32 v42, v43, v38, -v42
	v_mul_f32_e32 v43, v43, v60
	v_fmac_f32_e32 v43, v50, v38
	v_or_b32_e32 v38, 0xc0, v49
	v_mul_lo_u32 v61, v39, v38
	v_lshlrev_b32_sdwa v38, v57, v61 dst_sel:DWORD dst_unused:UNUSED_PAD src0_sel:DWORD src1_sel:BYTE_0
	v_lshlrev_b32_sdwa v49, v57, v61 dst_sel:DWORD dst_unused:UNUSED_PAD src0_sel:DWORD src1_sel:BYTE_1
	global_load_dwordx2 v[38:39], v38, s[4:5]
	s_nop 0
	global_load_dwordx2 v[59:60], v49, s[4:5] offset:2048
	s_waitcnt vmcnt(0)
	v_mul_f32_e32 v49, v39, v60
	v_fma_f32 v50, v38, v59, -v49
	v_mul_f32_e32 v49, v38, v60
	v_bfe_u32 v38, v61, 16, 8
	v_lshl_or_b32 v38, v38, 3, v58
	v_fmac_f32_e32 v49, v39, v59
	global_load_dwordx2 v[38:39], v38, s[4:5]
	s_movk_i32 s4, 0x23f
	v_cmp_lt_u32_e64 s[4:5], s4, v0
	s_waitcnt vmcnt(0)
	v_mul_f32_e32 v57, v49, v39
	v_mul_f32_e32 v39, v50, v39
	v_fmac_f32_e32 v39, v38, v49
	v_fma_f32 v57, v38, v50, -v57
	v_mul_f32_e32 v38, v45, v39
	v_fma_f32 v38, v44, v57, -v38
	v_mul_f32_e32 v39, v44, v39
	v_mov_b32_e32 v44, 0xe0
	v_cndmask_b32_e64 v44, 0, v44, s[4:5]
	v_or_b32_e32 v44, v48, v44
	v_fmac_f32_e32 v39, v45, v57
	v_mul_lo_u32 v45, s12, v44
	s_movk_i32 s4, 0x47
	v_cmp_lt_u32_e64 s[4:5], s4, v0
	s_or_b64 s[0:1], s[4:5], s[0:1]
	v_add_lshl_u32 v45, v37, v45, 3
	v_cndmask_b32_e64 v45, -1, v45, s[2:3]
	buffer_store_dwordx2 v[1:2], v45, s[8:11], s13 offen
	v_add_u32_e32 v1, 32, v44
	v_mul_lo_u32 v1, s12, v1
	v_add_lshl_u32 v1, v37, v1, 3
	v_cndmask_b32_e64 v1, -1, v1, s[2:3]
	buffer_store_dwordx2 v[3:4], v1, s[8:11], s13 offen
	v_add_u32_e32 v1, 64, v44
	v_mul_lo_u32 v1, s12, v1
	v_cndmask_b32_e64 v3, 0, 1, vcc
	v_add_lshl_u32 v1, v37, v1, 3
	v_cndmask_b32_e64 v1, -1, v1, s[2:3]
	buffer_store_dwordx2 v[5:6], v1, s[8:11], s13 offen
	v_add_u32_e32 v1, 0x60, v44
	v_mul_lo_u32 v1, s12, v1
	v_add_lshl_u32 v1, v37, v1, 3
	v_cndmask_b32_e64 v1, -1, v1, s[2:3]
	buffer_store_dwordx2 v[7:8], v1, s[8:11], s13 offen
	v_add_u32_e32 v1, 0x80, v44
	v_mul_lo_u32 v1, s12, v1
	;; [unrolled: 5-line block ×4, first 2 shown]
	v_add_lshl_u32 v1, v37, v1, 3
	v_cndmask_b32_e64 v1, -1, v1, s[2:3]
	buffer_store_dwordx2 v[13:14], v1, s[8:11], s13 offen
	v_add_lshl_u32 v1, v37, v47, 3
	v_cndmask_b32_e64 v1, -1, v1, s[2:3]
	buffer_store_dwordx2 v[15:16], v1, s[8:11], s13 offen
	v_mul_lo_u32 v1, s12, v51
	v_add_lshl_u32 v1, v37, v1, 3
	v_cndmask_b32_e64 v1, -1, v1, s[2:3]
	buffer_store_dwordx2 v[17:18], v1, s[8:11], s13 offen
	v_mul_lo_u32 v1, s12, v52
	;; [unrolled: 4-line block ×6, first 2 shown]
	v_add_lshl_u32 v1, v37, v1, 3
	v_cndmask_b32_e64 v1, -1, v1, s[2:3]
	buffer_store_dwordx2 v[27:28], v1, s[8:11], s13 offen
	v_lshrrev_b32_e32 v1, 5, v46
	v_mul_u32_u24_e32 v1, 0xc0, v1
	v_or_b32_e32 v1, v1, v46
	v_mul_lo_u32 v2, s12, v1
	v_cmp_gt_u32_e64 s[2:3], s18, v0
	v_cndmask_b32_e64 v0, 0, 1, s[2:3]
	v_cndmask_b32_e64 v0, v3, v0, s[0:1]
	v_and_b32_e32 v0, 1, v0
	v_cmp_eq_u32_e32 vcc, 1, v0
	v_add_lshl_u32 v0, v37, v2, 3
	v_cndmask_b32_e32 v0, -1, v0, vcc
	buffer_store_dwordx2 v[29:30], v0, s[8:11], s13 offen
	v_add_u32_e32 v0, 32, v1
	v_mul_lo_u32 v0, s12, v0
	v_add_lshl_u32 v0, v37, v0, 3
	v_cndmask_b32_e32 v0, -1, v0, vcc
	buffer_store_dwordx2 v[31:32], v0, s[8:11], s13 offen
	v_add_u32_e32 v0, 64, v1
	v_mul_lo_u32 v0, s12, v0
	;; [unrolled: 5-line block ×6, first 2 shown]
	v_add_lshl_u32 v0, v37, v0, 3
	v_cndmask_b32_e32 v0, -1, v0, vcc
	buffer_store_dwordx2 v[38:39], v0, s[8:11], s13 offen
	s_endpgm
	.section	.rodata,"a",@progbits
	.p2align	6, 0x0
	.amdhsa_kernel fft_rtc_fwd_len224_factors_2_4_4_7_wgs_252_tpt_14_dim3_sp_ip_CI_sbcc_twdbase8_3step_dirReg_intrinsicReadWrite
		.amdhsa_group_segment_fixed_size 0
		.amdhsa_private_segment_fixed_size 0
		.amdhsa_kernarg_size 88
		.amdhsa_user_sgpr_count 6
		.amdhsa_user_sgpr_private_segment_buffer 1
		.amdhsa_user_sgpr_dispatch_ptr 0
		.amdhsa_user_sgpr_queue_ptr 0
		.amdhsa_user_sgpr_kernarg_segment_ptr 1
		.amdhsa_user_sgpr_dispatch_id 0
		.amdhsa_user_sgpr_flat_scratch_init 0
		.amdhsa_user_sgpr_private_segment_size 0
		.amdhsa_uses_dynamic_stack 0
		.amdhsa_system_sgpr_private_segment_wavefront_offset 0
		.amdhsa_system_sgpr_workgroup_id_x 1
		.amdhsa_system_sgpr_workgroup_id_y 0
		.amdhsa_system_sgpr_workgroup_id_z 0
		.amdhsa_system_sgpr_workgroup_info 0
		.amdhsa_system_vgpr_workitem_id 0
		.amdhsa_next_free_vgpr 75
		.amdhsa_next_free_sgpr 28
		.amdhsa_reserve_vcc 1
		.amdhsa_reserve_flat_scratch 0
		.amdhsa_float_round_mode_32 0
		.amdhsa_float_round_mode_16_64 0
		.amdhsa_float_denorm_mode_32 3
		.amdhsa_float_denorm_mode_16_64 3
		.amdhsa_dx10_clamp 1
		.amdhsa_ieee_mode 1
		.amdhsa_fp16_overflow 0
		.amdhsa_exception_fp_ieee_invalid_op 0
		.amdhsa_exception_fp_denorm_src 0
		.amdhsa_exception_fp_ieee_div_zero 0
		.amdhsa_exception_fp_ieee_overflow 0
		.amdhsa_exception_fp_ieee_underflow 0
		.amdhsa_exception_fp_ieee_inexact 0
		.amdhsa_exception_int_div_zero 0
	.end_amdhsa_kernel
	.text
.Lfunc_end0:
	.size	fft_rtc_fwd_len224_factors_2_4_4_7_wgs_252_tpt_14_dim3_sp_ip_CI_sbcc_twdbase8_3step_dirReg_intrinsicReadWrite, .Lfunc_end0-fft_rtc_fwd_len224_factors_2_4_4_7_wgs_252_tpt_14_dim3_sp_ip_CI_sbcc_twdbase8_3step_dirReg_intrinsicReadWrite
                                        ; -- End function
	.section	.AMDGPU.csdata,"",@progbits
; Kernel info:
; codeLenInByte = 9928
; NumSgprs: 32
; NumVgprs: 75
; ScratchSize: 0
; MemoryBound: 0
; FloatMode: 240
; IeeeMode: 1
; LDSByteSize: 0 bytes/workgroup (compile time only)
; SGPRBlocks: 3
; VGPRBlocks: 18
; NumSGPRsForWavesPerEU: 32
; NumVGPRsForWavesPerEU: 75
; Occupancy: 3
; WaveLimiterHint : 0
; COMPUTE_PGM_RSRC2:SCRATCH_EN: 0
; COMPUTE_PGM_RSRC2:USER_SGPR: 6
; COMPUTE_PGM_RSRC2:TRAP_HANDLER: 0
; COMPUTE_PGM_RSRC2:TGID_X_EN: 1
; COMPUTE_PGM_RSRC2:TGID_Y_EN: 0
; COMPUTE_PGM_RSRC2:TGID_Z_EN: 0
; COMPUTE_PGM_RSRC2:TIDIG_COMP_CNT: 0
	.type	__hip_cuid_f8969ab9e8353a9b,@object ; @__hip_cuid_f8969ab9e8353a9b
	.section	.bss,"aw",@nobits
	.globl	__hip_cuid_f8969ab9e8353a9b
__hip_cuid_f8969ab9e8353a9b:
	.byte	0                               ; 0x0
	.size	__hip_cuid_f8969ab9e8353a9b, 1

	.ident	"AMD clang version 19.0.0git (https://github.com/RadeonOpenCompute/llvm-project roc-6.4.0 25133 c7fe45cf4b819c5991fe208aaa96edf142730f1d)"
	.section	".note.GNU-stack","",@progbits
	.addrsig
	.addrsig_sym __hip_cuid_f8969ab9e8353a9b
	.amdgpu_metadata
---
amdhsa.kernels:
  - .args:
      - .actual_access:  read_only
        .address_space:  global
        .offset:         0
        .size:           8
        .value_kind:     global_buffer
      - .address_space:  global
        .offset:         8
        .size:           8
        .value_kind:     global_buffer
      - .actual_access:  read_only
        .address_space:  global
        .offset:         16
        .size:           8
        .value_kind:     global_buffer
      - .actual_access:  read_only
        .address_space:  global
        .offset:         24
        .size:           8
        .value_kind:     global_buffer
      - .offset:         32
        .size:           8
        .value_kind:     by_value
      - .actual_access:  read_only
        .address_space:  global
        .offset:         40
        .size:           8
        .value_kind:     global_buffer
      - .actual_access:  read_only
        .address_space:  global
        .offset:         48
        .size:           8
        .value_kind:     global_buffer
      - .offset:         56
        .size:           4
        .value_kind:     by_value
      - .actual_access:  read_only
        .address_space:  global
        .offset:         64
        .size:           8
        .value_kind:     global_buffer
      - .actual_access:  read_only
        .address_space:  global
        .offset:         72
        .size:           8
        .value_kind:     global_buffer
      - .address_space:  global
        .offset:         80
        .size:           8
        .value_kind:     global_buffer
    .group_segment_fixed_size: 0
    .kernarg_segment_align: 8
    .kernarg_segment_size: 88
    .language:       OpenCL C
    .language_version:
      - 2
      - 0
    .max_flat_workgroup_size: 252
    .name:           fft_rtc_fwd_len224_factors_2_4_4_7_wgs_252_tpt_14_dim3_sp_ip_CI_sbcc_twdbase8_3step_dirReg_intrinsicReadWrite
    .private_segment_fixed_size: 0
    .sgpr_count:     32
    .sgpr_spill_count: 0
    .symbol:         fft_rtc_fwd_len224_factors_2_4_4_7_wgs_252_tpt_14_dim3_sp_ip_CI_sbcc_twdbase8_3step_dirReg_intrinsicReadWrite.kd
    .uniform_work_group_size: 1
    .uses_dynamic_stack: false
    .vgpr_count:     75
    .vgpr_spill_count: 0
    .wavefront_size: 64
amdhsa.target:   amdgcn-amd-amdhsa--gfx906
amdhsa.version:
  - 1
  - 2
...

	.end_amdgpu_metadata
